;; amdgpu-corpus repo=zjin-lcf/HeCBench kind=compiled arch=gfx1250 opt=O3
	.amdgcn_target "amdgcn-amd-amdhsa--gfx1250"
	.amdhsa_code_object_version 6
	.text
	.protected	_Z11EstepKernelPKiS0_PKbPKfbiiiiS4_S4_PfS5_S5_S5_S5_Pi ; -- Begin function _Z11EstepKernelPKiS0_PKbPKfbiiiiS4_S4_PfS5_S5_S5_S5_Pi
	.globl	_Z11EstepKernelPKiS0_PKbPKfbiiiiS4_S4_PfS5_S5_S5_S5_Pi
	.p2align	8
	.type	_Z11EstepKernelPKiS0_PKbPKfbiiiiS4_S4_PfS5_S5_S5_S5_Pi,@function
_Z11EstepKernelPKiS0_PKbPKfbiiiiS4_S4_PfS5_S5_S5_S5_Pi: ; @_Z11EstepKernelPKiS0_PKbPKfbiiiiS4_S4_PfS5_S5_S5_S5_Pi
; %bb.0:
	s_load_b96 s[36:38], s[0:1], 0x28
	s_bfe_u32 s2, ttmp6, 0x4000c
	s_and_b32 s3, ttmp6, 15
	s_add_co_i32 s2, s2, 1
	s_getreg_b32 s4, hwreg(HW_REG_IB_STS2, 6, 4)
	s_mul_i32 s2, ttmp9, s2
	s_mov_b32 s41, 0
	s_add_co_i32 s3, s3, s2
	s_cmp_eq_u32 s4, 0
	s_cselect_b32 s34, ttmp9, s3
	s_wait_kmcnt 0x0
	s_cmp_ge_i32 s34, s36
	s_cbranch_scc1 .LBB0_129
; %bb.1:
	s_clause 0x5
	s_load_b32 s3, s[0:1], 0x20
	s_load_b256 s[8:15], s[0:1], 0x58
	s_load_b256 s[16:23], s[0:1], 0x38
	;; [unrolled: 1-line block ×3, first 2 shown]
	s_load_b32 s33, s[0:1], 0x78
	s_load_b32 s42, s[0:1], 0x84
	s_mul_i32 s40, s37, s34
	s_mov_b32 s35, s41
	v_mbcnt_lo_u32_b32 v4, -1, 0
	v_dual_lshrrev_b32 v3, 3, v0 :: v_dual_bitop2_b32 v2, 31, v0 bitop3:0x40
	v_lshlrev_b32_e32 v1, 2, v0
	v_cmp_gt_i32_e64 s2, s37, v0
	s_delay_alu instid0(VALU_DEP_4) | instskip(NEXT) | instid1(VALU_DEP_4)
	v_cmp_gt_u32_e32 vcc_lo, 24, v4
	v_lshlrev_b32_e32 v9, 2, v2
	v_and_b32_e32 v8, 0x7c, v3
	s_mul_i32 s43, s37, 12
	v_lshl_or_b32 v10, v4, 2, 64
	s_wait_xcnt 0x0
	v_cmp_gt_u32_e64 s0, 32, v0
	v_cmp_eq_u32_e64 s1, 0, v0
	v_add3_u32 v11, 0x80, s43, v1
	s_wait_kmcnt 0x0
	s_bitcmp1_b32 s3, 0
	v_cmp_eq_u32_e64 s3, 0, v2
	s_cselect_b32 s44, -1, 0
	s_lshl_b32 s39, s37, 2
	s_lshl_b64 s[4:5], s[40:41], 2
	s_add_co_i32 s52, s39, 0x80
	v_cndmask_b32_e64 v2, 0, 8, vcc_lo
	s_add_co_i32 s53, s52, s39
	v_cmp_gt_u32_e32 vcc_lo, 28, v4
	s_add_co_i32 s53, s53, s39
	s_cmp_gt_i32 s38, 0
	s_add_nc_u64 s[22:23], s[22:23], s[4:5]
	s_cselect_b32 s54, -1, 0
	s_and_b32 s55, s42, 0xffff
	s_lshl_b64 s[6:7], s[34:35], 2
	s_cmp_gt_u32 s55, 32
	v_cndmask_b32_e64 v3, 0, 4, vcc_lo
	s_cselect_b32 s56, -1, 0
	s_abs_i32 s57, s37
	v_cmp_gt_u32_e32 vcc_lo, 30, v4
	s_cvt_f32_u32 s35, s57
	s_add_nc_u64 s[10:11], s[10:11], s[6:7]
	s_add_nc_u64 s[12:13], s[12:13], s[6:7]
	v_add_lshl_u32 v13, v2, v4, 2
	v_rcp_iflag_f32_e32 v6, s35
	v_cndmask_b32_e64 v5, 0, 2, vcc_lo
	v_cmp_ne_u32_e32 vcc_lo, 31, v4
	v_add_lshl_u32 v14, v3, v4, 2
	s_bfe_u32 s5, s42, 0xb0005
	s_lshl_b32 s60, s37, 3
	v_add_lshl_u32 v15, v5, v4, 2
	v_readfirstlane_b32 s35, v6
	v_add_co_ci_u32_e64 v7, null, 0, v4, vcc_lo
	v_mov_b64_e32 v[2:3], 0x3beeeeef3d2aaaab
	v_mov_b64_e32 v[4:5], 1
	s_delay_alu instid0(VALU_DEP_4) | instskip(SKIP_2) | instid1(SALU_CYCLE_1)
	s_mul_f32 s4, s35, 0x4f7ffffe
	v_dual_mov_b32 v19, 0 :: v_dual_add_nc_u32 v12, 0x80, v1
	v_dual_lshlrev_b32 v16, 2, v7 :: v_dual_add_nc_u32 v17, s52, v1
	s_cvt_u32_f32 s6, s4
	s_sub_co_i32 s4, 0, s57
	v_add3_u32 v18, 0x80, s60, v1
	s_and_b32 s58, s2, s44
	s_mul_i32 s7, s4, s6
	v_cmp_gt_u32_e64 s4, s5, v0
	s_mul_hi_u32 s5, s6, s7
	s_ashr_i32 s59, s37, 31
	s_add_co_i32 s42, s6, s5
	s_mov_b32 s43, s41
	s_lshl_b32 s61, s55, 2
	s_branch .LBB0_3
.LBB0_2:                                ;   in Loop: Header=BB0_3 Depth=1
	s_wait_xcnt 0x0
	s_or_b32 exec_lo, exec_lo, s5
	s_add_co_i32 s34, s33, s34
	s_wait_storecnt 0x0
	s_cmp_ge_i32 s34, s36
	s_barrier_signal -1
	s_barrier_wait -1
	s_cbranch_scc1 .LBB0_129
.LBB0_3:                                ; =>This Loop Header: Depth=1
                                        ;     Child Loop BB0_5 Depth 2
                                        ;     Child Loop BB0_8 Depth 2
	;; [unrolled: 1-line block ×3, first 2 shown]
                                        ;       Child Loop BB0_14 Depth 3
                                        ;       Child Loop BB0_19 Depth 3
                                        ;         Child Loop BB0_23 Depth 4
                                        ;           Child Loop BB0_25 Depth 5
                                        ;         Child Loop BB0_29 Depth 4
                                        ;         Child Loop BB0_42 Depth 4
	;; [unrolled: 1-line block ×6, first 2 shown]
                                        ;       Child Loop BB0_78 Depth 3
                                        ;     Child Loop BB0_81 Depth 2
                                        ;     Child Loop BB0_95 Depth 2
                                        ;       Child Loop BB0_97 Depth 3
                                        ;       Child Loop BB0_101 Depth 3
                                        ;     Child Loop BB0_103 Depth 2
                                        ;     Child Loop BB0_116 Depth 2
	s_ashr_i32 s35, s34, 31
	s_wait_kmcnt 0x0
	s_lshl_b64 s[6:7], s[34:35], 2
	s_delay_alu instid0(SALU_CYCLE_1) | instskip(SKIP_3) | instid1(SALU_CYCLE_1)
	s_add_nc_u64 s[44:45], s[26:27], s[6:7]
	s_load_b64 s[6:7], s[44:45], 0x0
	s_wait_xcnt 0x0
	s_mul_i32 s44, s34, s37
	s_ashr_i32 s45, s44, 31
	s_delay_alu instid0(SALU_CYCLE_1) | instskip(NEXT) | instid1(SALU_CYCLE_1)
	s_lshl_b64 s[44:45], s[44:45], 2
	s_add_nc_u64 s[44:45], s[20:21], s[44:45]
	s_and_saveexec_b32 s5, s58
	s_cbranch_execz .LBB0_6
; %bb.4:                                ;   in Loop: Header=BB0_3 Depth=1
	s_wait_kmcnt 0x0
	s_sub_co_i32 s35, s7, s6
	v_mov_b32_e32 v6, v0
	s_abs_i32 s40, s35
	s_ashr_i32 s35, s35, 31
	s_mul_u64 s[46:47], s[40:41], s[42:43]
	s_xor_b32 s35, s35, s59
	s_mul_i32 s46, s47, s57
	s_delay_alu instid0(SALU_CYCLE_1)
	s_sub_co_i32 s40, s40, s46
	s_add_co_i32 s46, s47, 1
	s_sub_co_i32 s48, s40, s57
	s_cmp_ge_u32 s40, s57
	s_cselect_b32 s46, s46, s47
	s_cselect_b32 s40, s48, s40
	s_add_co_i32 s47, s46, 1
	s_cmp_ge_u32 s40, s57
	s_cselect_b32 s40, s47, s46
	s_delay_alu instid0(SALU_CYCLE_1) | instskip(NEXT) | instid1(SALU_CYCLE_1)
	s_xor_b32 s40, s40, s35
	s_sub_co_i32 s35, s40, s35
	s_mov_b32 s40, 0
	s_cvt_f32_i32 s35, s35
.LBB0_5:                                ;   Parent Loop BB0_3 Depth=1
                                        ; =>  This Inner Loop Header: Depth=2
	global_load_b32 v7, v6, s[16:17] scale_offset
	s_wait_loadcnt 0x0
	v_add_f32_e32 v7, s35, v7
	global_store_b32 v6, v7, s[44:45] scale_offset
	s_wait_xcnt 0x0
	v_add_nc_u32_e32 v6, s55, v6
	s_delay_alu instid0(VALU_DEP_1) | instskip(SKIP_1) | instid1(SALU_CYCLE_1)
	v_cmp_le_i32_e32 vcc_lo, s37, v6
	s_or_b32 s40, vcc_lo, s40
	s_and_not1_b32 exec_lo, exec_lo, s40
	s_cbranch_execnz .LBB0_5
.LBB0_6:                                ;   in Loop: Header=BB0_3 Depth=1
	s_or_b32 exec_lo, exec_lo, s5
	s_wait_storecnt 0x0
	s_barrier_signal -1
	s_barrier_wait -1
	s_and_saveexec_b32 s5, s2
	s_cbranch_execz .LBB0_9
; %bb.7:                                ;   in Loop: Header=BB0_3 Depth=1
	v_dual_mov_b32 v6, v11 :: v_dual_mov_b32 v7, v0
	s_mov_b32 s35, 0
.LBB0_8:                                ;   Parent Loop BB0_3 Depth=1
                                        ; =>  This Inner Loop Header: Depth=2
	s_delay_alu instid0(VALU_DEP_1) | instskip(SKIP_4) | instid1(SALU_CYCLE_1)
	v_add_nc_u32_e32 v7, s55, v7
	ds_store_b32 v6, v19
	v_add_nc_u32_e32 v6, s61, v6
	v_cmp_le_i32_e32 vcc_lo, s37, v7
	s_or_b32 s35, vcc_lo, s35
	s_and_not1_b32 exec_lo, exec_lo, s35
	s_cbranch_execnz .LBB0_8
.LBB0_9:                                ;   in Loop: Header=BB0_3 Depth=1
	s_or_b32 exec_lo, exec_lo, s5
	s_delay_alu instid0(SALU_CYCLE_1)
	s_and_not1_b32 vcc_lo, exec_lo, s54
	s_cbranch_vccnz .LBB0_79
; %bb.10:                               ;   in Loop: Header=BB0_3 Depth=1
	s_wait_kmcnt 0x0
	s_cmp_gt_i32 s7, s6
	s_mov_b32 s40, 0
	s_cselect_b32 s35, -1, 0
	s_branch .LBB0_12
.LBB0_11:                               ;   in Loop: Header=BB0_12 Depth=2
	s_or_b32 exec_lo, exec_lo, s5
	s_add_co_i32 s40, s40, 1
	s_wait_storecnt 0x0
	s_cmp_eq_u32 s40, s38
	s_barrier_signal -1
	s_barrier_wait -1
	s_cbranch_scc1 .LBB0_79
.LBB0_12:                               ;   Parent Loop BB0_3 Depth=1
                                        ; =>  This Loop Header: Depth=2
                                        ;       Child Loop BB0_14 Depth 3
                                        ;       Child Loop BB0_19 Depth 3
                                        ;         Child Loop BB0_23 Depth 4
                                        ;           Child Loop BB0_25 Depth 5
                                        ;         Child Loop BB0_29 Depth 4
                                        ;         Child Loop BB0_42 Depth 4
	;; [unrolled: 1-line block ×6, first 2 shown]
                                        ;       Child Loop BB0_78 Depth 3
	s_and_saveexec_b32 s5, s2
	s_cbranch_execz .LBB0_15
; %bb.13:                               ;   in Loop: Header=BB0_12 Depth=2
	v_dual_mov_b32 v6, v12 :: v_dual_mov_b32 v7, v0
	s_mov_b32 s46, 0
.LBB0_14:                               ;   Parent Loop BB0_3 Depth=1
                                        ;     Parent Loop BB0_12 Depth=2
                                        ; =>    This Inner Loop Header: Depth=3
	s_delay_alu instid0(VALU_DEP_1) | instskip(SKIP_4) | instid1(SALU_CYCLE_1)
	v_add_nc_u32_e32 v7, s55, v7
	ds_store_b32 v6, v19
	v_add_nc_u32_e32 v6, s61, v6
	v_cmp_le_i32_e32 vcc_lo, s37, v7
	s_or_b32 s46, vcc_lo, s46
	s_and_not1_b32 exec_lo, exec_lo, s46
	s_cbranch_execnz .LBB0_14
.LBB0_15:                               ;   in Loop: Header=BB0_12 Depth=2
	s_or_b32 exec_lo, exec_lo, s5
	s_delay_alu instid0(SALU_CYCLE_1)
	s_and_not1_b32 vcc_lo, exec_lo, s35
	s_wait_dscnt 0x0
	s_barrier_signal -1
	s_barrier_wait -1
	s_cbranch_vccnz .LBB0_76
; %bb.16:                               ;   in Loop: Header=BB0_12 Depth=2
	s_add_co_i32 s5, s40, 1
	s_mov_b32 s46, s6
	s_cmp_lg_u32 s5, s38
	s_cselect_b32 s62, -1, 0
	s_cmp_eq_u32 s5, s38
	s_cselect_b32 s63, -1, 0
	s_branch .LBB0_19
.LBB0_17:                               ;   in Loop: Header=BB0_19 Depth=3
	s_wait_xcnt 0x0
	s_or_b32 exec_lo, exec_lo, s48
	s_wait_storecnt 0x0
	s_barrier_signal -1
	s_barrier_wait -1
.LBB0_18:                               ;   in Loop: Header=BB0_19 Depth=3
	s_add_co_i32 s46, s46, 1
	s_delay_alu instid0(SALU_CYCLE_1)
	s_cmp_ge_i32 s46, s7
	s_barrier_signal -1
	s_barrier_wait -1
	s_cbranch_scc1 .LBB0_76
.LBB0_19:                               ;   Parent Loop BB0_3 Depth=1
                                        ;     Parent Loop BB0_12 Depth=2
                                        ; =>    This Loop Header: Depth=3
                                        ;         Child Loop BB0_23 Depth 4
                                        ;           Child Loop BB0_25 Depth 5
                                        ;         Child Loop BB0_29 Depth 4
                                        ;         Child Loop BB0_42 Depth 4
	;; [unrolled: 1-line block ×6, first 2 shown]
	v_mov_b32_e32 v6, s46
	s_wait_kmcnt 0x0
	s_ashr_i32 s47, s46, 31
	s_delay_alu instid0(SALU_CYCLE_1) | instskip(NEXT) | instid1(SALU_CYCLE_1)
	s_lshl_b64 s[48:49], s[46:47], 2
	s_add_nc_u64 s[50:51], s[24:25], s[48:49]
	global_load_u8 v6, v6, s[28:29]
	s_add_nc_u64 s[64:65], s[30:31], s[48:49]
	s_load_b32 s48, s[50:51], 0x0
	s_load_b32 s47, s[64:65], 0x0
	s_wait_loadcnt 0x0
	v_readfirstlane_b32 s5, v6
	s_bitcmp1_b32 s5, 0
	s_cselect_b32 s49, -1, 0
	s_delay_alu instid0(SALU_CYCLE_1) | instskip(NEXT) | instid1(SALU_CYCLE_1)
	s_and_b32 s5, s49, s62
	s_and_b32 vcc_lo, exec_lo, s5
	s_cbranch_vccnz .LBB0_44
; %bb.20:                               ;   in Loop: Header=BB0_19 Depth=3
	s_wait_xcnt 0x0
	s_and_saveexec_b32 s50, s2
	s_cbranch_execz .LBB0_27
; %bb.21:                               ;   in Loop: Header=BB0_19 Depth=3
	v_mov_b32_e32 v6, v0
	s_wait_kmcnt 0x0
	s_mul_i32 s51, s48, s37
	s_mov_b32 s64, 0
	s_branch .LBB0_23
.LBB0_22:                               ;   in Loop: Header=BB0_23 Depth=4
	s_or_b32 exec_lo, exec_lo, s5
	v_add_f32_e32 v21, -0.5, v21
	s_delay_alu instid0(VALU_DEP_1) | instskip(NEXT) | instid1(VALU_DEP_1)
	v_div_scale_f32 v22, null, v21, v21, 1.0
	v_rcp_f32_e32 v23, v22
	v_nop
	s_delay_alu instid0(TRANS32_DEP_1) | instskip(NEXT) | instid1(VALU_DEP_1)
	v_fma_f32 v24, -v22, v23, 1.0
	v_fmac_f32_e32 v23, v24, v23
	v_cmp_gt_f32_e64 s5, 0x800000, v21
	v_div_scale_f32 v25, vcc_lo, 1.0, v21, 1.0
	s_delay_alu instid0(VALU_DEP_2) | instskip(NEXT) | instid1(VALU_DEP_1)
	v_cndmask_b32_e64 v24, 0, 32, s5
	v_ldexp_f32 v24, v21, v24
	s_delay_alu instid0(VALU_DEP_1) | instskip(NEXT) | instid1(VALU_DEP_3)
	v_log_f32_e32 v24, v24
	v_mul_f32_e32 v26, v25, v23
	s_delay_alu instid0(VALU_DEP_1)
	v_fma_f32 v27, -v22, v26, v25
	s_delay_alu instid0(TRANS32_DEP_1) | instid1(VALU_DEP_1)
	v_dual_fmac_f32 v26, v27, v23 :: v_dual_mul_f32 v27, 0x3f317217, v24
	s_delay_alu instid0(VALU_DEP_1) | instskip(NEXT) | instid1(VALU_DEP_2)
	v_fma_f32 v22, -v22, v26, v25
	v_fma_f32 v25, 0x3f317217, v24, -v27
	s_delay_alu instid0(VALU_DEP_1) | instskip(NEXT) | instid1(VALU_DEP_3)
	v_fmac_f32_e32 v25, 0x3377d1cf, v24
	v_div_fmas_f32 v22, v22, v23, v26
	v_cmp_gt_f32_e64 vcc_lo, 0x7f800000, |v24|
	s_delay_alu instid0(VALU_DEP_2) | instskip(NEXT) | instid1(VALU_DEP_1)
	v_div_fixup_f32 v21, v22, v21, 1.0
	v_dual_fmac_f32 v25, 0x3f317217, v24 :: v_dual_mul_f32 v22, v21, v21
	v_cndmask_b32_e64 v21, 0, 0x41b17218, s5
	s_delay_alu instid0(VALU_DEP_2) | instskip(NEXT) | instid1(VALU_DEP_1)
	v_dual_cndmask_b32 v24, v24, v25 :: v_dual_mul_f32 v23, v22, v22
	v_dual_sub_f32 v21, v24, v21 :: v_dual_mul_f32 v28, 0x3b877777, v23
	v_pk_mul_f32 v[24:25], v[22:23], v[2:3]
	v_dual_mul_f32 v26, 0x3b7befbf, v23 :: v_dual_mov_b32 v27, v23
	s_delay_alu instid0(VALU_DEP_2) | instskip(NEXT) | instid1(VALU_DEP_1)
	v_dual_mov_b32 v23, v28 :: v_dual_add_f32 v21, v21, v24
	v_pk_mul_f32 v[22:23], v[26:27], v[22:23]
	s_delay_alu instid0(VALU_DEP_2) | instskip(NEXT) | instid1(VALU_DEP_1)
	v_sub_f32_e32 v21, v21, v25
	v_add_f32_e32 v21, v21, v22
	s_delay_alu instid0(VALU_DEP_1) | instskip(NEXT) | instid1(VALU_DEP_1)
	v_sub_f32_e32 v21, v21, v23
	v_add_f32_e32 v20, v20, v21
	s_delay_alu instid0(VALU_DEP_1) | instskip(NEXT) | instid1(VALU_DEP_1)
	v_mul_f32_e32 v21, 0x3fb8aa3b, v20
	v_fma_f32 v22, 0x3fb8aa3b, v20, -v21
	v_rndne_f32_e32 v23, v21
	s_delay_alu instid0(VALU_DEP_1) | instskip(SKIP_1) | instid1(VALU_DEP_2)
	v_dual_sub_f32 v21, v21, v23 :: v_dual_fmac_f32 v22, 0x32a5705f, v20
	v_cmp_ngt_f32_e32 vcc_lo, 0xc2ce8ed0, v20
	v_add_f32_e32 v21, v21, v22
	v_cvt_i32_f32_e32 v22, v23
	s_delay_alu instid0(VALU_DEP_2) | instskip(SKIP_1) | instid1(TRANS32_DEP_1)
	v_exp_f32_e32 v21, v21
	v_nop
	v_ldexp_f32 v21, v21, v22
	v_lshl_add_u32 v22, v6, 2, s52
	s_delay_alu instid0(VALU_DEP_2) | instskip(SKIP_1) | instid1(VALU_DEP_2)
	v_dual_cndmask_b32 v21, 0, v21 :: v_dual_add_nc_u32 v6, s55, v6
	v_cmp_nlt_f32_e32 vcc_lo, 0x42b17218, v20
	v_cndmask_b32_e32 v20, 0x7f800000, v21, vcc_lo
	s_delay_alu instid0(VALU_DEP_3) | instskip(SKIP_1) | instid1(VALU_DEP_2)
	v_cmp_le_i32_e32 vcc_lo, s37, v6
	s_wait_loadcnt 0x0
	v_mul_f32_e32 v7, v7, v20
	s_or_b32 s64, vcc_lo, s64
	ds_store_b32 v22, v7
	s_and_not1_b32 exec_lo, exec_lo, s64
	s_cbranch_execz .LBB0_27
.LBB0_23:                               ;   Parent Loop BB0_3 Depth=1
                                        ;     Parent Loop BB0_12 Depth=2
                                        ;       Parent Loop BB0_19 Depth=3
                                        ; =>      This Loop Header: Depth=4
                                        ;           Child Loop BB0_25 Depth 5
	v_dual_mov_b32 v20, 0 :: v_dual_add_nc_u32 v7, s51, v6
	global_load_b32 v21, v6, s[44:45] scale_offset
	s_mov_b32 s5, exec_lo
	global_load_b32 v7, v7, s[18:19] scale_offset
	s_wait_loadcnt 0x1
	s_wait_xcnt 0x0
	v_cmpx_gt_f32_e32 0x40e00000, v21
	s_cbranch_execz .LBB0_22
; %bb.24:                               ;   in Loop: Header=BB0_23 Depth=4
	v_mov_b32_e32 v20, 0
	s_mov_b32 s65, 0
.LBB0_25:                               ;   Parent Loop BB0_3 Depth=1
                                        ;     Parent Loop BB0_12 Depth=2
                                        ;       Parent Loop BB0_19 Depth=3
                                        ;         Parent Loop BB0_23 Depth=4
                                        ; =>        This Inner Loop Header: Depth=5
	v_div_scale_f32 v22, null, v21, v21, 1.0
	v_div_scale_f32 v25, vcc_lo, 1.0, v21, 1.0
	s_delay_alu instid0(VALU_DEP_2) | instskip(SKIP_1) | instid1(TRANS32_DEP_1)
	v_rcp_f32_e32 v23, v22
	v_nop
	v_fma_f32 v24, -v22, v23, 1.0
	s_delay_alu instid0(VALU_DEP_1) | instskip(NEXT) | instid1(VALU_DEP_1)
	v_fmac_f32_e32 v23, v24, v23
	v_mul_f32_e32 v24, v25, v23
	s_delay_alu instid0(VALU_DEP_1) | instskip(NEXT) | instid1(VALU_DEP_1)
	v_fma_f32 v26, -v22, v24, v25
	v_fmac_f32_e32 v24, v26, v23
	s_delay_alu instid0(VALU_DEP_1) | instskip(NEXT) | instid1(VALU_DEP_1)
	v_fma_f32 v22, -v22, v24, v25
	v_div_fmas_f32 v22, v22, v23, v24
	s_delay_alu instid0(VALU_DEP_1) | instskip(NEXT) | instid1(VALU_DEP_1)
	v_div_fixup_f32 v22, v22, v21, 1.0
	v_dual_add_f32 v21, 1.0, v21 :: v_dual_sub_f32 v20, v20, v22
	s_delay_alu instid0(VALU_DEP_1) | instskip(SKIP_1) | instid1(SALU_CYCLE_1)
	v_cmp_ngt_f32_e32 vcc_lo, 0x40e00000, v21
	s_or_b32 s65, vcc_lo, s65
	s_and_not1_b32 exec_lo, exec_lo, s65
	s_cbranch_execnz .LBB0_25
; %bb.26:                               ;   in Loop: Header=BB0_23 Depth=4
	s_or_b32 exec_lo, exec_lo, s65
	s_branch .LBB0_22
.LBB0_27:                               ;   in Loop: Header=BB0_19 Depth=3
	s_or_b32 exec_lo, exec_lo, s50
	v_mov_b32_e32 v6, 0
	s_wait_dscnt 0x0
	s_barrier_signal -1
	s_barrier_wait -1
	s_and_saveexec_b32 s5, s2
	s_cbranch_execz .LBB0_31
; %bb.28:                               ;   in Loop: Header=BB0_19 Depth=3
	v_dual_mov_b32 v6, 0 :: v_dual_mov_b32 v7, v17
	v_mov_b32_e32 v20, v0
	s_mov_b32 s50, 0
.LBB0_29:                               ;   Parent Loop BB0_3 Depth=1
                                        ;     Parent Loop BB0_12 Depth=2
                                        ;       Parent Loop BB0_19 Depth=3
                                        ; =>      This Inner Loop Header: Depth=4
	ds_load_b32 v21, v7
	v_dual_add_nc_u32 v20, s55, v20 :: v_dual_add_nc_u32 v7, s61, v7
	s_delay_alu instid0(VALU_DEP_1)
	v_cmp_le_i32_e32 vcc_lo, s37, v20
	s_or_b32 s50, vcc_lo, s50
	s_wait_dscnt 0x0
	v_add_f32_e32 v6, v6, v21
	s_and_not1_b32 exec_lo, exec_lo, s50
	s_cbranch_execnz .LBB0_29
; %bb.30:                               ;   in Loop: Header=BB0_19 Depth=3
	s_or_b32 exec_lo, exec_lo, s50
.LBB0_31:                               ;   in Loop: Header=BB0_19 Depth=3
	s_delay_alu instid0(SALU_CYCLE_1)
	s_or_b32 exec_lo, exec_lo, s5
	ds_bpermute_b32 v7, v10, v6
	s_wait_dscnt 0x0
	v_add_f32_e32 v6, v6, v7
	ds_bpermute_b32 v7, v13, v6
	s_wait_dscnt 0x0
	v_add_f32_e32 v6, v6, v7
	;; [unrolled: 3-line block ×4, first 2 shown]
	ds_bpermute_b32 v7, v16, v6
	s_and_saveexec_b32 s5, s3
	s_cbranch_execz .LBB0_33
; %bb.32:                               ;   in Loop: Header=BB0_19 Depth=3
	s_wait_dscnt 0x0
	v_add_f32_e32 v6, v6, v7
	ds_store_b32 v8, v6
.LBB0_33:                               ;   in Loop: Header=BB0_19 Depth=3
	s_or_b32 exec_lo, exec_lo, s5
	s_delay_alu instid0(SALU_CYCLE_1)
	s_and_not1_b32 vcc_lo, exec_lo, s56
	s_wait_dscnt 0x0
	s_barrier_signal -1
	s_barrier_wait -1
	s_cbranch_vccnz .LBB0_40
; %bb.34:                               ;   in Loop: Header=BB0_19 Depth=3
	v_mov_b32_e32 v6, 0
	s_and_saveexec_b32 s5, s4
; %bb.35:                               ;   in Loop: Header=BB0_19 Depth=3
	ds_load_b32 v6, v9
; %bb.36:                               ;   in Loop: Header=BB0_19 Depth=3
	s_or_b32 exec_lo, exec_lo, s5
	s_and_saveexec_b32 s5, s0
	s_cbranch_execz .LBB0_39
; %bb.37:                               ;   in Loop: Header=BB0_19 Depth=3
	s_wait_dscnt 0x0
	ds_bpermute_b32 v7, v10, v6
	s_wait_dscnt 0x0
	v_add_f32_e32 v6, v6, v7
	ds_bpermute_b32 v7, v13, v6
	s_wait_dscnt 0x0
	v_add_f32_e32 v6, v6, v7
	;; [unrolled: 3-line block ×4, first 2 shown]
	ds_bpermute_b32 v7, v16, v6
	s_and_b32 exec_lo, exec_lo, s1
	s_cbranch_execz .LBB0_39
; %bb.38:                               ;   in Loop: Header=BB0_19 Depth=3
	s_wait_dscnt 0x0
	v_add_f32_e32 v6, v6, v7
	ds_store_b32 v19, v6
.LBB0_39:                               ;   in Loop: Header=BB0_19 Depth=3
	s_or_b32 exec_lo, exec_lo, s5
	s_wait_dscnt 0x0
	s_barrier_signal -1
	s_barrier_wait -1
.LBB0_40:                               ;   in Loop: Header=BB0_19 Depth=3
	s_and_saveexec_b32 s5, s2
	s_cbranch_execz .LBB0_43
; %bb.41:                               ;   in Loop: Header=BB0_19 Depth=3
	ds_load_b32 v6, v19
	v_dual_mov_b32 v7, v1 :: v_dual_mov_b32 v20, v0
	s_and_b32 s50, s49, exec_lo
	s_cselect_b32 s50, s53, 0x80
	s_mov_b32 s51, 0
.LBB0_42:                               ;   Parent Loop BB0_3 Depth=1
                                        ;     Parent Loop BB0_12 Depth=2
                                        ;       Parent Loop BB0_19 Depth=3
                                        ; =>      This Inner Loop Header: Depth=4
	s_delay_alu instid0(VALU_DEP_1) | instskip(SKIP_4) | instid1(VALU_DEP_2)
	v_add_nc_u32_e32 v21, s52, v7
	ds_load_b32 v22, v21
	s_wait_dscnt 0x0
	v_div_scale_f32 v23, null, v6, v6, v22
	v_div_scale_f32 v26, vcc_lo, v22, v6, v22
	v_rcp_f32_e32 v24, v23
	v_nop
	s_delay_alu instid0(TRANS32_DEP_1) | instskip(NEXT) | instid1(VALU_DEP_1)
	v_fma_f32 v25, -v23, v24, 1.0
	v_fmac_f32_e32 v24, v25, v24
	s_delay_alu instid0(VALU_DEP_1) | instskip(NEXT) | instid1(VALU_DEP_1)
	v_mul_f32_e32 v25, v26, v24
	v_fma_f32 v27, -v23, v25, v26
	s_delay_alu instid0(VALU_DEP_1) | instskip(NEXT) | instid1(VALU_DEP_1)
	v_fmac_f32_e32 v25, v27, v24
	v_fma_f32 v23, -v23, v25, v26
	s_delay_alu instid0(VALU_DEP_1) | instskip(NEXT) | instid1(VALU_DEP_1)
	v_div_fmas_f32 v23, v23, v24, v25
	v_div_fixup_f32 v22, v23, v6, v22
	v_dual_add_nc_u32 v23, s50, v7 :: v_dual_add_nc_u32 v7, s61, v7
	ds_store_b32 v21, v22
	ds_load_b32 v21, v23
	s_wait_dscnt 0x0
	s_wait_kmcnt 0x0
	v_dual_fmac_f32 v21, s47, v22 :: v_dual_add_nc_u32 v20, s55, v20
	s_delay_alu instid0(VALU_DEP_1) | instskip(SKIP_2) | instid1(SALU_CYCLE_1)
	v_cmp_le_i32_e32 vcc_lo, s37, v20
	ds_store_b32 v23, v21
	s_or_b32 s51, vcc_lo, s51
	s_and_not1_b32 exec_lo, exec_lo, s51
	s_cbranch_execnz .LBB0_42
.LBB0_43:                               ;   in Loop: Header=BB0_19 Depth=3
	s_or_b32 exec_lo, exec_lo, s5
	s_wait_dscnt 0x0
	s_barrier_signal -1
	s_barrier_wait -1
.LBB0_44:                               ;   in Loop: Header=BB0_19 Depth=3
	s_and_not1_b32 vcc_lo, exec_lo, s63
	s_cbranch_vccnz .LBB0_18
; %bb.45:                               ;   in Loop: Header=BB0_19 Depth=3
	s_xor_b32 s5, s49, -1
	s_delay_alu instid0(SALU_CYCLE_1)
	s_and_not1_b32 vcc_lo, exec_lo, s5
	s_cbranch_vccnz .LBB0_55
; %bb.46:                               ;   in Loop: Header=BB0_19 Depth=3
	s_wait_xcnt 0x0
	s_and_saveexec_b32 s64, s1
	s_cbranch_execz .LBB0_49
; %bb.47:                               ;   in Loop: Header=BB0_19 Depth=3
	s_wait_kmcnt 0x0
	s_ashr_i32 s49, s48, 31
	s_delay_alu instid0(SALU_CYCLE_1)
	s_lshl_b64 s[50:51], s[48:49], 2
	s_mov_b32 s49, 0
	s_add_nc_u64 s[50:51], s[14:15], s[50:51]
.LBB0_48:                               ;   Parent Loop BB0_3 Depth=1
                                        ;     Parent Loop BB0_12 Depth=2
                                        ;       Parent Loop BB0_19 Depth=3
                                        ; =>      This Inner Loop Header: Depth=4
	global_atomic_cmpswap_b32 v6, v19, v[4:5], s[50:51] th:TH_ATOMIC_RETURN scope:SCOPE_DEV
	s_wait_loadcnt 0x0
	v_cmp_eq_u32_e32 vcc_lo, 0, v6
	s_or_b32 s49, vcc_lo, s49
	s_delay_alu instid0(SALU_CYCLE_1)
	s_and_not1_b32 exec_lo, exec_lo, s49
	s_cbranch_execnz .LBB0_48
.LBB0_49:                               ;   in Loop: Header=BB0_19 Depth=3
	s_or_b32 exec_lo, exec_lo, s64
	s_barrier_signal -1
	s_barrier_wait -1
	s_and_saveexec_b32 s49, s2
	s_cbranch_execz .LBB0_52
; %bb.50:                               ;   in Loop: Header=BB0_19 Depth=3
	v_dual_mov_b32 v6, v17 :: v_dual_mov_b32 v7, v0
	s_wait_kmcnt 0x0
	s_mul_i32 s50, s48, s37
	s_mov_b32 s51, 0
.LBB0_51:                               ;   Parent Loop BB0_3 Depth=1
                                        ;     Parent Loop BB0_12 Depth=2
                                        ;       Parent Loop BB0_19 Depth=3
                                        ; =>      This Inner Loop Header: Depth=4
	s_delay_alu instid0(VALU_DEP_1)
	v_dual_add_nc_u32 v20, s50, v7 :: v_dual_add_nc_u32 v7, s55, v7
	ds_load_b32 v22, v6
	v_add_nc_u32_e32 v6, s61, v6
	global_load_b32 v21, v20, s[8:9] scale_offset
	v_cmp_le_i32_e32 vcc_lo, s37, v7
	s_or_b32 s51, vcc_lo, s51
	s_wait_loadcnt_dscnt 0x0
	v_fmac_f32_e32 v21, s47, v22
	global_store_b32 v20, v21, s[8:9] scale_offset
	s_wait_xcnt 0x0
	s_and_not1_b32 exec_lo, exec_lo, s51
	s_cbranch_execnz .LBB0_51
.LBB0_52:                               ;   in Loop: Header=BB0_19 Depth=3
	s_or_b32 exec_lo, exec_lo, s49
	s_wait_storecnt 0x0
	s_barrier_signal -1
	s_barrier_wait -1
	s_and_saveexec_b32 s49, s1
	s_cbranch_execz .LBB0_54
; %bb.53:                               ;   in Loop: Header=BB0_19 Depth=3
	s_wait_kmcnt 0x0
	v_mov_b32_e32 v6, s48
	global_store_b32 v6, v19, s[14:15] scale_offset
.LBB0_54:                               ;   in Loop: Header=BB0_19 Depth=3
	s_wait_xcnt 0x0
	s_or_b32 exec_lo, exec_lo, s49
	s_wait_storecnt 0x0
	s_barrier_signal -1
	s_barrier_wait -1
.LBB0_55:                               ;   in Loop: Header=BB0_19 Depth=3
	s_and_saveexec_b32 s49, s2
	s_cbranch_execz .LBB0_58
; %bb.56:                               ;   in Loop: Header=BB0_19 Depth=3
	v_dual_mov_b32 v6, v12 :: v_dual_mov_b32 v7, v0
	s_wait_kmcnt 0x0
	s_mul_i32 s48, s48, s37
	s_mov_b32 s50, 0
.LBB0_57:                               ;   Parent Loop BB0_3 Depth=1
                                        ;     Parent Loop BB0_12 Depth=2
                                        ;       Parent Loop BB0_19 Depth=3
                                        ; =>      This Inner Loop Header: Depth=4
	s_delay_alu instid0(VALU_DEP_1) | instskip(SKIP_4) | instid1(VALU_DEP_1)
	v_dual_add_nc_u32 v20, s48, v7 :: v_dual_add_nc_u32 v7, s55, v7
	global_load_b32 v20, v20, s[18:19] scale_offset
	s_wait_loadcnt 0x0
	s_wait_xcnt 0x0
	v_max_num_f32_e32 v20, v20, v20
	v_max_num_f32_e32 v20, 0x358637bd, v20
	s_delay_alu instid0(VALU_DEP_1) | instskip(SKIP_2) | instid1(VALU_DEP_2)
	v_cmp_gt_f32_e32 vcc_lo, 0x800000, v20
	v_cndmask_b32_e64 v21, 0, 32, vcc_lo
	v_cndmask_b32_e64 v22, 0, 0x41b17218, vcc_lo
	v_ldexp_f32 v20, v20, v21
	s_delay_alu instid0(VALU_DEP_1) | instskip(SKIP_1) | instid1(TRANS32_DEP_1)
	v_log_f32_e32 v20, v20
	v_nop
	v_mul_f32_e32 v21, 0x3f317217, v20
	v_cmp_gt_f32_e64 vcc_lo, 0x7f800000, |v20|
	s_delay_alu instid0(VALU_DEP_2) | instskip(NEXT) | instid1(VALU_DEP_1)
	v_fma_f32 v21, 0x3f317217, v20, -v21
	v_fmac_f32_e32 v21, 0x3377d1cf, v20
	s_delay_alu instid0(VALU_DEP_1) | instskip(NEXT) | instid1(VALU_DEP_1)
	v_fmac_f32_e32 v21, 0x3f317217, v20
	v_dual_cndmask_b32 v20, v20, v21 :: v_dual_add_nc_u32 v21, s60, v6
	s_delay_alu instid0(VALU_DEP_1)
	v_sub_f32_e32 v20, v20, v22
	v_dual_add_nc_u32 v22, s39, v6 :: v_dual_add_nc_u32 v6, s61, v6
	ds_store_b32 v21, v20
	ds_load_b32 v23, v22
	s_wait_dscnt 0x0
	v_max_num_f32_e32 v23, v23, v23
	s_delay_alu instid0(VALU_DEP_1) | instskip(NEXT) | instid1(VALU_DEP_1)
	v_max_num_f32_e32 v23, 0x358637bd, v23
	v_cmp_gt_f32_e32 vcc_lo, 0x800000, v23
	v_cndmask_b32_e64 v24, 0, 32, vcc_lo
	v_cndmask_b32_e64 v25, 0, 0x41b17218, vcc_lo
	s_delay_alu instid0(VALU_DEP_2) | instskip(NEXT) | instid1(VALU_DEP_1)
	v_ldexp_f32 v23, v23, v24
	v_log_f32_e32 v23, v23
	v_nop
	s_delay_alu instid0(TRANS32_DEP_1) | instskip(SKIP_1) | instid1(VALU_DEP_2)
	v_mul_f32_e32 v24, 0x3f317217, v23
	v_cmp_gt_f32_e64 vcc_lo, 0x7f800000, |v23|
	v_fma_f32 v24, 0x3f317217, v23, -v24
	s_delay_alu instid0(VALU_DEP_1) | instskip(NEXT) | instid1(VALU_DEP_1)
	v_fmac_f32_e32 v24, 0x3377d1cf, v23
	v_fmac_f32_e32 v24, 0x3f317217, v23
	s_delay_alu instid0(VALU_DEP_1) | instskip(SKIP_1) | instid1(VALU_DEP_2)
	v_cndmask_b32_e32 v23, v23, v24, vcc_lo
	v_cmp_le_i32_e32 vcc_lo, s37, v7
	v_sub_f32_e32 v23, v23, v25
	s_or_b32 s50, vcc_lo, s50
	s_delay_alu instid0(VALU_DEP_1)
	v_sub_f32_e32 v20, v20, v23
	ds_store_b32 v21, v20
	ds_load_b32 v22, v22
	s_wait_dscnt 0x0
	v_mul_f32_e32 v20, v22, v20
	ds_store_b32 v21, v20
	s_and_not1_b32 exec_lo, exec_lo, s50
	s_cbranch_execnz .LBB0_57
.LBB0_58:                               ;   in Loop: Header=BB0_19 Depth=3
	s_or_b32 exec_lo, exec_lo, s49
	v_mov_b32_e32 v6, 0
	s_wait_dscnt 0x0
	s_barrier_signal -1
	s_barrier_wait -1
	s_wait_kmcnt 0x0
	s_and_saveexec_b32 s48, s2
	s_cbranch_execz .LBB0_62
; %bb.59:                               ;   in Loop: Header=BB0_19 Depth=3
	v_dual_mov_b32 v6, 0 :: v_dual_mov_b32 v7, v18
	v_mov_b32_e32 v20, v0
	s_mov_b32 s49, 0
.LBB0_60:                               ;   Parent Loop BB0_3 Depth=1
                                        ;     Parent Loop BB0_12 Depth=2
                                        ;       Parent Loop BB0_19 Depth=3
                                        ; =>      This Inner Loop Header: Depth=4
	ds_load_b32 v21, v7
	v_dual_add_nc_u32 v20, s55, v20 :: v_dual_add_nc_u32 v7, s61, v7
	s_delay_alu instid0(VALU_DEP_1)
	v_cmp_le_i32_e32 vcc_lo, s37, v20
	s_or_b32 s49, vcc_lo, s49
	s_wait_dscnt 0x0
	v_add_f32_e32 v6, v6, v21
	s_and_not1_b32 exec_lo, exec_lo, s49
	s_cbranch_execnz .LBB0_60
; %bb.61:                               ;   in Loop: Header=BB0_19 Depth=3
	s_or_b32 exec_lo, exec_lo, s49
.LBB0_62:                               ;   in Loop: Header=BB0_19 Depth=3
	s_delay_alu instid0(SALU_CYCLE_1)
	s_or_b32 exec_lo, exec_lo, s48
	ds_bpermute_b32 v7, v10, v6
	s_wait_dscnt 0x0
	v_add_f32_e32 v6, v6, v7
	ds_bpermute_b32 v7, v13, v6
	s_wait_dscnt 0x0
	v_add_f32_e32 v6, v6, v7
	;; [unrolled: 3-line block ×4, first 2 shown]
	ds_bpermute_b32 v7, v16, v6
	s_and_saveexec_b32 s48, s3
	s_cbranch_execz .LBB0_64
; %bb.63:                               ;   in Loop: Header=BB0_19 Depth=3
	s_wait_dscnt 0x0
	v_add_f32_e32 v6, v6, v7
	ds_store_b32 v8, v6
.LBB0_64:                               ;   in Loop: Header=BB0_19 Depth=3
	s_or_b32 exec_lo, exec_lo, s48
	s_delay_alu instid0(SALU_CYCLE_1)
	s_and_not1_b32 vcc_lo, exec_lo, s56
	s_wait_dscnt 0x0
	s_barrier_signal -1
	s_barrier_wait -1
	s_cbranch_vccnz .LBB0_71
; %bb.65:                               ;   in Loop: Header=BB0_19 Depth=3
	v_mov_b32_e32 v6, 0
	s_and_saveexec_b32 s48, s4
; %bb.66:                               ;   in Loop: Header=BB0_19 Depth=3
	ds_load_b32 v6, v9
; %bb.67:                               ;   in Loop: Header=BB0_19 Depth=3
	s_or_b32 exec_lo, exec_lo, s48
	s_and_saveexec_b32 s48, s0
	s_cbranch_execz .LBB0_70
; %bb.68:                               ;   in Loop: Header=BB0_19 Depth=3
	s_wait_dscnt 0x0
	ds_bpermute_b32 v7, v10, v6
	s_wait_dscnt 0x0
	v_add_f32_e32 v6, v6, v7
	ds_bpermute_b32 v7, v13, v6
	s_wait_dscnt 0x0
	v_add_f32_e32 v6, v6, v7
	ds_bpermute_b32 v7, v14, v6
	s_wait_dscnt 0x0
	v_add_f32_e32 v6, v6, v7
	ds_bpermute_b32 v7, v15, v6
	s_wait_dscnt 0x0
	v_add_f32_e32 v6, v6, v7
	ds_bpermute_b32 v7, v16, v6
	s_and_b32 exec_lo, exec_lo, s1
	s_cbranch_execz .LBB0_70
; %bb.69:                               ;   in Loop: Header=BB0_19 Depth=3
	s_wait_dscnt 0x0
	v_add_f32_e32 v6, v6, v7
	ds_store_b32 v19, v6
.LBB0_70:                               ;   in Loop: Header=BB0_19 Depth=3
	s_or_b32 exec_lo, exec_lo, s48
	s_wait_dscnt 0x0
	s_barrier_signal -1
	s_barrier_wait -1
.LBB0_71:                               ;   in Loop: Header=BB0_19 Depth=3
	s_and_saveexec_b32 s48, s1
	s_cbranch_execz .LBB0_17
; %bb.72:                               ;   in Loop: Header=BB0_19 Depth=3
	ds_load_b32 v6, v19
	s_and_b32 vcc_lo, exec_lo, s5
	s_mov_b32 s5, -1
	s_wait_dscnt 0x0
	v_mul_f32_e32 v6, s47, v6
	s_cbranch_vccz .LBB0_74
; %bb.73:                               ;   in Loop: Header=BB0_19 Depth=3
	global_load_b32 v7, v19, s[10:11]
	s_mov_b32 s5, 0
	s_wait_loadcnt 0x0
	v_add_f32_e32 v7, v6, v7
	global_store_b32 v19, v7, s[10:11]
.LBB0_74:                               ;   in Loop: Header=BB0_19 Depth=3
	s_and_not1_b32 vcc_lo, exec_lo, s5
	s_cbranch_vccnz .LBB0_17
; %bb.75:                               ;   in Loop: Header=BB0_19 Depth=3
	global_load_b32 v7, v19, s[12:13]
	s_wait_loadcnt 0x0
	v_add_f32_e32 v6, v6, v7
	global_store_b32 v19, v6, s[12:13]
	s_branch .LBB0_17
.LBB0_76:                               ;   in Loop: Header=BB0_12 Depth=2
	s_and_saveexec_b32 s5, s2
	s_cbranch_execz .LBB0_11
; %bb.77:                               ;   in Loop: Header=BB0_12 Depth=2
	v_dual_mov_b32 v6, v12 :: v_dual_mov_b32 v7, v0
	s_mov_b32 s46, 0
.LBB0_78:                               ;   Parent Loop BB0_3 Depth=1
                                        ;     Parent Loop BB0_12 Depth=2
                                        ; =>    This Inner Loop Header: Depth=3
	global_load_b32 v20, v7, s[16:17] scale_offset
	ds_load_b32 v21, v6
	s_wait_loadcnt_dscnt 0x0
	v_dual_add_nc_u32 v6, s61, v6 :: v_dual_add_f32 v20, v21, v20
	global_store_b32 v7, v20, s[44:45] scale_offset
	s_wait_xcnt 0x0
	v_add_nc_u32_e32 v7, s55, v7
	s_delay_alu instid0(VALU_DEP_1) | instskip(SKIP_1) | instid1(SALU_CYCLE_1)
	v_cmp_le_i32_e32 vcc_lo, s37, v7
	s_or_b32 s46, vcc_lo, s46
	s_and_not1_b32 exec_lo, exec_lo, s46
	s_cbranch_execnz .LBB0_78
	s_branch .LBB0_11
.LBB0_79:                               ;   in Loop: Header=BB0_3 Depth=1
	v_mov_b32_e32 v6, 0
	s_and_saveexec_b32 s5, s2
	s_cbranch_execz .LBB0_83
; %bb.80:                               ;   in Loop: Header=BB0_3 Depth=1
	v_dual_mov_b32 v6, 0 :: v_dual_mov_b32 v7, v0
	s_wait_kmcnt 0x0
	s_mov_b32 s6, 0
.LBB0_81:                               ;   Parent Loop BB0_3 Depth=1
                                        ; =>  This Inner Loop Header: Depth=2
	global_load_b32 v20, v7, s[44:45] scale_offset
	s_wait_loadcnt 0x0
	v_dual_add_f32 v6, v6, v20 :: v_dual_add_nc_u32 v7, s55, v7
	s_delay_alu instid0(VALU_DEP_1) | instskip(SKIP_1) | instid1(SALU_CYCLE_1)
	v_cmp_le_i32_e32 vcc_lo, s37, v7
	s_or_b32 s6, vcc_lo, s6
	s_and_not1_b32 exec_lo, exec_lo, s6
	s_cbranch_execnz .LBB0_81
; %bb.82:                               ;   in Loop: Header=BB0_3 Depth=1
	s_or_b32 exec_lo, exec_lo, s6
.LBB0_83:                               ;   in Loop: Header=BB0_3 Depth=1
	s_delay_alu instid0(SALU_CYCLE_1)
	s_or_b32 exec_lo, exec_lo, s5
	ds_bpermute_b32 v7, v10, v6
	s_wait_dscnt 0x0
	v_add_f32_e32 v6, v6, v7
	ds_bpermute_b32 v7, v13, v6
	s_wait_dscnt 0x0
	v_add_f32_e32 v6, v6, v7
	;; [unrolled: 3-line block ×4, first 2 shown]
	ds_bpermute_b32 v7, v16, v6
	s_and_saveexec_b32 s5, s3
	s_cbranch_execz .LBB0_85
; %bb.84:                               ;   in Loop: Header=BB0_3 Depth=1
	s_wait_dscnt 0x0
	v_add_f32_e32 v6, v6, v7
	ds_store_b32 v8, v6
.LBB0_85:                               ;   in Loop: Header=BB0_3 Depth=1
	s_or_b32 exec_lo, exec_lo, s5
	s_delay_alu instid0(SALU_CYCLE_1)
	s_and_not1_b32 vcc_lo, exec_lo, s56
	s_wait_dscnt 0x0
	s_barrier_signal -1
	s_barrier_wait -1
	s_cbranch_vccnz .LBB0_92
; %bb.86:                               ;   in Loop: Header=BB0_3 Depth=1
	v_mov_b32_e32 v6, 0
	s_and_saveexec_b32 s5, s4
; %bb.87:                               ;   in Loop: Header=BB0_3 Depth=1
	ds_load_b32 v6, v9
; %bb.88:                               ;   in Loop: Header=BB0_3 Depth=1
	s_or_b32 exec_lo, exec_lo, s5
	s_and_saveexec_b32 s5, s0
	s_cbranch_execz .LBB0_91
; %bb.89:                               ;   in Loop: Header=BB0_3 Depth=1
	s_wait_dscnt 0x0
	ds_bpermute_b32 v7, v10, v6
	s_wait_dscnt 0x0
	v_add_f32_e32 v6, v6, v7
	ds_bpermute_b32 v7, v13, v6
	s_wait_dscnt 0x0
	v_add_f32_e32 v6, v6, v7
	;; [unrolled: 3-line block ×4, first 2 shown]
	ds_bpermute_b32 v7, v16, v6
	s_and_b32 exec_lo, exec_lo, s1
	s_cbranch_execz .LBB0_91
; %bb.90:                               ;   in Loop: Header=BB0_3 Depth=1
	s_wait_dscnt 0x0
	v_add_f32_e32 v6, v6, v7
	ds_store_b32 v19, v6
.LBB0_91:                               ;   in Loop: Header=BB0_3 Depth=1
	s_or_b32 exec_lo, exec_lo, s5
	s_wait_dscnt 0x0
	s_barrier_signal -1
	s_barrier_wait -1
.LBB0_92:                               ;   in Loop: Header=BB0_3 Depth=1
	v_mov_b32_e32 v6, 0
	s_and_saveexec_b32 s35, s2
	s_cbranch_execz .LBB0_105
; %bb.93:                               ;   in Loop: Header=BB0_3 Depth=1
	ds_load_b32 v6, v19
	s_mov_b32 s46, 0
	s_wait_dscnt 0x0
	v_readfirstlane_b32 s40, v6
	v_cmp_gt_f32_e64 s5, 0x40e00000, v6
	v_mov_b32_e32 v6, v0
	s_branch .LBB0_95
.LBB0_94:                               ;   in Loop: Header=BB0_95 Depth=2
	s_delay_alu instid0(VALU_DEP_1)
	v_lshl_add_u64 v[24:25], v[6:7], 2, s[22:23]
	v_add_f32_e32 v22, -0.5, v22
	s_add_f32 s47, s6, -0.5
	global_load_b32 v7, v[24:25], off
	v_div_scale_f32 v23, null, v22, v22, 1.0
	v_div_scale_f32 v26, null, s47, s47, 1.0
	v_div_scale_f32 v27, s6, 1.0, s47, 1.0
	s_delay_alu instid0(VALU_DEP_3) | instskip(NEXT) | instid1(VALU_DEP_2)
	v_rcp_f32_e32 v28, v23
	v_rcp_f32_e32 v29, v26
	v_nop
	v_xor_b32_e32 v26, 0x80000000, v26
	s_cmp_lt_f32 s47, 0x800000
	s_cselect_b32 s48, 0x4f800000, 1.0
	s_delay_alu instid0(TRANS32_DEP_2)
	v_fma_f32 v31, -v23, v28, 1.0
	s_delay_alu instid0(TRANS32_DEP_1) | instid1(VALU_DEP_2)
	v_fma_f32 v32, v26, v29, 1.0
	s_mul_f32 s48, s47, s48
	s_cselect_b32 s50, 0x41b17218, 0
	s_delay_alu instid0(VALU_DEP_2) | instskip(SKIP_4) | instid1(VALU_DEP_3)
	v_fmac_f32_e32 v28, v31, v28
	v_cmp_gt_f32_e64 s7, 0x800000, v22
	v_div_scale_f32 v33, vcc_lo, 1.0, v22, 1.0
	v_fmac_f32_e32 v29, v32, v29
	v_s_log_f32 s48, s48
	v_cndmask_b32_e64 v30, 0, 32, s7
	s_delay_alu instid0(VALU_DEP_3) | instskip(NEXT) | instid1(VALU_DEP_2)
	v_mul_f32_e32 v31, v33, v28
	v_ldexp_f32 v30, v22, v30
	s_delay_alu instid0(VALU_DEP_2) | instskip(SKIP_1) | instid1(TRANS32_DEP_1)
	v_fma_f32 v34, -v23, v31, v33
	v_mul_f32_e32 v32, v27, v29
	s_mul_f32 s49, s48, 0x3f317217
	s_delay_alu instid0(VALU_DEP_3) | instskip(NEXT) | instid1(VALU_DEP_2)
	v_log_f32_e32 v30, v30
	v_fmac_f32_e32 v31, v34, v28
	s_delay_alu instid0(VALU_DEP_2) | instskip(SKIP_1) | instid1(SALU_CYCLE_1)
	v_fma_f32 v35, v26, v32, v27
	s_xor_b32 s49, s49, 0x80000000
	s_fmamk_f32 s49, s48, 0x3f317217, s49
	s_delay_alu instid0(VALU_DEP_1)
	v_fmac_f32_e32 v32, v35, v29
	s_delay_alu instid0(TRANS32_DEP_1) | instid1(VALU_DEP_1)
	v_dual_mul_f32 v36, 0x3f317217, v30 :: v_dual_fmac_f32 v27, v26, v32
	s_delay_alu instid0(VALU_DEP_1) | instskip(NEXT) | instid1(VALU_DEP_1)
	v_fma_f32 v34, 0x3f317217, v30, -v36
	v_fmac_f32_e32 v34, 0x3377d1cf, v30
	s_delay_alu instid0(VALU_DEP_1) | instskip(SKIP_1) | instid1(VALU_DEP_1)
	v_fmac_f32_e32 v34, 0x3f317217, v30
	v_fma_f32 v23, -v23, v31, v33
	v_div_fmas_f32 v23, v23, v28, v31
	s_mov_b32 vcc_lo, s6
	s_and_b32 s6, s48, 0x7fffffff
	v_div_fmas_f32 v26, v27, v29, v32
	v_cmp_gt_f32_e64 vcc_lo, 0x7f800000, |v30|
	v_div_fixup_f32 v23, v23, v22, 1.0
	v_cndmask_b32_e64 v27, 0, 0x41b17218, s7
	s_fmamk_f32 s7, s48, 0x3377d1cf, s49
	v_div_fixup_f32 v26, v26, s47, 1.0
	s_cmp_lt_f32 s6, 0x7f800000
	v_mul_f32_e32 v31, v23, v23
	s_fmamk_f32 s6, s48, 0x3f317217, s7
	s_delay_alu instid0(VALU_DEP_1)
	v_dual_mul_f32 v22, v26, v26 :: v_dual_mul_f32 v33, v31, v31
	v_cndmask_b32_e32 v26, v30, v34, vcc_lo
	v_lshlrev_b32_e32 v30, 2, v6
	s_cselect_b32 s6, s6, s48
	v_add_nc_u32_e32 v6, s55, v6
	s_sub_f32 s6, s6, s50
	v_sub_f32_e32 v32, v26, v27
	v_mul_f32_e32 v23, v22, v22
	v_mul_f32_e32 v35, 0x3b7befbf, v33
	v_cmp_le_i32_e32 vcc_lo, s37, v6
	s_delay_alu instid0(VALU_DEP_4) | instskip(NEXT) | instid1(VALU_DEP_4)
	v_fmac_f32_e32 v32, 0x3d2aaaab, v31
	v_pk_mul_f32 v[26:27], v[22:23], v[2:3]
	v_dual_mul_f32 v34, 0x3b877777, v23 :: v_dual_mov_b32 v29, v23
	v_mul_f32_e32 v28, 0x3b7befbf, v23
	s_or_b32 s46, vcc_lo, s46
	s_delay_alu instid0(VALU_DEP_2) | instskip(NEXT) | instid1(VALU_DEP_1)
	v_dual_add_f32 v26, s6, v26 :: v_dual_mov_b32 v23, v34
	v_sub_f32_e32 v26, v26, v27
	s_delay_alu instid0(VALU_DEP_2) | instskip(SKIP_1) | instid1(VALU_DEP_2)
	v_pk_mul_f32 v[22:23], v[28:29], v[22:23]
	v_mul_f32_e32 v28, 0x3b877777, v33
	v_add_f32_e32 v22, v26, v22
	s_delay_alu instid0(VALU_DEP_1) | instskip(NEXT) | instid1(VALU_DEP_1)
	v_sub_f32_e32 v22, v22, v23
	v_dual_fmac_f32 v32, 0xbbeeeeef, v33 :: v_dual_add_f32 v21, v21, v22
	s_delay_alu instid0(VALU_DEP_1) | instskip(NEXT) | instid1(VALU_DEP_1)
	v_fmac_f32_e32 v32, v31, v35
	v_fma_f32 v26, -v33, v28, v32
	s_delay_alu instid0(VALU_DEP_1) | instskip(NEXT) | instid1(VALU_DEP_1)
	v_add_f32_e32 v20, v20, v26
	v_sub_f32_e32 v20, v20, v21
	v_add_nc_u32_e32 v34, 0x80, v30
	v_add_nc_u32_e32 v22, s53, v30
	ds_load_b32 v27, v34
	s_wait_dscnt 0x0
	v_mul_f32_e32 v21, v27, v20
	ds_store_b32 v34, v21
	ds_load_b32 v21, v22
	s_wait_loadcnt_dscnt 0x0
	v_dual_add_f32 v7, v7, v20 :: v_dual_mul_f32 v20, v21, v20
	global_store_b32 v[24:25], v7, off
	ds_store_b32 v22, v20
	s_wait_xcnt 0x0
	s_and_not1_b32 exec_lo, exec_lo, s46
	s_cbranch_execz .LBB0_102
.LBB0_95:                               ;   Parent Loop BB0_3 Depth=1
                                        ; =>  This Loop Header: Depth=2
                                        ;       Child Loop BB0_97 Depth 3
                                        ;       Child Loop BB0_101 Depth 3
	global_load_b32 v22, v6, s[44:45] scale_offset
	v_mov_b32_e32 v20, 0
	s_wait_kmcnt 0x0
	s_mov_b32 s6, exec_lo
	s_wait_loadcnt 0x0
	s_wait_xcnt 0x0
	v_cmpx_gt_f32_e32 0x40e00000, v22
	s_cbranch_execz .LBB0_99
; %bb.96:                               ;   in Loop: Header=BB0_95 Depth=2
	v_mov_b32_e32 v20, 0
	s_mov_b32 s7, 0
.LBB0_97:                               ;   Parent Loop BB0_3 Depth=1
                                        ;     Parent Loop BB0_95 Depth=2
                                        ; =>    This Inner Loop Header: Depth=3
	v_div_scale_f32 v7, null, v22, v22, 1.0
	v_div_scale_f32 v24, vcc_lo, 1.0, v22, 1.0
	s_delay_alu instid0(VALU_DEP_2) | instskip(SKIP_1) | instid1(TRANS32_DEP_1)
	v_rcp_f32_e32 v21, v7
	v_nop
	v_fma_f32 v23, -v7, v21, 1.0
	s_delay_alu instid0(VALU_DEP_1) | instskip(NEXT) | instid1(VALU_DEP_1)
	v_fmac_f32_e32 v21, v23, v21
	v_mul_f32_e32 v23, v24, v21
	s_delay_alu instid0(VALU_DEP_1) | instskip(NEXT) | instid1(VALU_DEP_1)
	v_fma_f32 v25, -v7, v23, v24
	v_fmac_f32_e32 v23, v25, v21
	s_delay_alu instid0(VALU_DEP_1) | instskip(NEXT) | instid1(VALU_DEP_1)
	v_fma_f32 v7, -v7, v23, v24
	v_div_fmas_f32 v7, v7, v21, v23
	s_delay_alu instid0(VALU_DEP_1) | instskip(NEXT) | instid1(VALU_DEP_1)
	v_div_fixup_f32 v7, v7, v22, 1.0
	v_dual_add_f32 v22, 1.0, v22 :: v_dual_sub_f32 v20, v20, v7
	s_delay_alu instid0(VALU_DEP_1) | instskip(SKIP_1) | instid1(SALU_CYCLE_1)
	v_cmp_ngt_f32_e32 vcc_lo, 0x40e00000, v22
	s_or_b32 s7, vcc_lo, s7
	s_and_not1_b32 exec_lo, exec_lo, s7
	s_cbranch_execnz .LBB0_97
; %bb.98:                               ;   in Loop: Header=BB0_95 Depth=2
	s_or_b32 exec_lo, exec_lo, s7
.LBB0_99:                               ;   in Loop: Header=BB0_95 Depth=2
	s_delay_alu instid0(SALU_CYCLE_1)
	s_or_b32 exec_lo, exec_lo, s6
	v_dual_ashrrev_i32 v7, 31, v6 :: v_dual_mov_b32 v21, 0
	s_and_not1_b32 vcc_lo, exec_lo, s5
	s_mov_b32 s6, s40
	s_cbranch_vccnz .LBB0_94
; %bb.100:                              ;   in Loop: Header=BB0_95 Depth=2
	v_mov_b32_e32 v21, 0
	s_mov_b32 s6, s40
.LBB0_101:                              ;   Parent Loop BB0_3 Depth=1
                                        ;     Parent Loop BB0_95 Depth=2
                                        ; =>    This Inner Loop Header: Depth=3
	s_delay_alu instid0(SALU_CYCLE_1) | instskip(SKIP_1) | instid1(VALU_DEP_2)
	v_div_scale_f32 v23, null, s6, s6, 1.0
	v_div_scale_f32 v26, vcc_lo, 1.0, s6, 1.0
	v_rcp_f32_e32 v24, v23
	v_nop
	v_xor_b32_e32 v23, 0x80000000, v23
	s_delay_alu instid0(TRANS32_DEP_1) | instid1(VALU_DEP_1)
	v_fma_f32 v25, v23, v24, 1.0
	s_delay_alu instid0(VALU_DEP_1) | instskip(NEXT) | instid1(VALU_DEP_1)
	v_fmac_f32_e32 v24, v25, v24
	v_mul_f32_e32 v25, v26, v24
	s_delay_alu instid0(VALU_DEP_1) | instskip(NEXT) | instid1(VALU_DEP_1)
	v_fma_f32 v27, v23, v25, v26
	v_fmac_f32_e32 v25, v27, v24
	s_delay_alu instid0(VALU_DEP_1) | instskip(NEXT) | instid1(VALU_DEP_1)
	v_fmac_f32_e32 v26, v23, v25
	v_div_fmas_f32 v23, v26, v24, v25
	s_delay_alu instid0(VALU_DEP_1) | instskip(SKIP_1) | instid1(SALU_CYCLE_3)
	v_div_fixup_f32 v23, v23, s6, 1.0
	s_add_f32 s6, s6, 1.0
	s_cmp_lt_f32 s6, 0x40e00000
	s_delay_alu instid0(VALU_DEP_1)
	v_sub_f32_e32 v21, v21, v23
	s_cbranch_scc1 .LBB0_101
	s_branch .LBB0_94
.LBB0_102:                              ;   in Loop: Header=BB0_3 Depth=1
	s_or_b32 exec_lo, exec_lo, s46
	v_dual_mov_b32 v6, 0 :: v_dual_mov_b32 v7, v12
	v_mov_b32_e32 v20, v0
	s_mov_b32 s5, 0
.LBB0_103:                              ;   Parent Loop BB0_3 Depth=1
                                        ; =>  This Inner Loop Header: Depth=2
	ds_load_b32 v21, v7
	v_dual_add_nc_u32 v20, s55, v20 :: v_dual_add_nc_u32 v7, s61, v7
	s_delay_alu instid0(VALU_DEP_1)
	v_cmp_le_i32_e32 vcc_lo, s37, v20
	s_or_b32 s5, vcc_lo, s5
	s_wait_dscnt 0x0
	v_add_f32_e32 v6, v6, v21
	s_and_not1_b32 exec_lo, exec_lo, s5
	s_cbranch_execnz .LBB0_103
; %bb.104:                              ;   in Loop: Header=BB0_3 Depth=1
	s_or_b32 exec_lo, exec_lo, s5
.LBB0_105:                              ;   in Loop: Header=BB0_3 Depth=1
	s_delay_alu instid0(SALU_CYCLE_1)
	s_or_b32 exec_lo, exec_lo, s35
	ds_bpermute_b32 v7, v10, v6
	s_wait_dscnt 0x0
	v_add_f32_e32 v6, v6, v7
	ds_bpermute_b32 v7, v13, v6
	s_wait_dscnt 0x0
	v_add_f32_e32 v6, v6, v7
	;; [unrolled: 3-line block ×4, first 2 shown]
	ds_bpermute_b32 v7, v16, v6
	s_and_saveexec_b32 s5, s3
	s_cbranch_execz .LBB0_107
; %bb.106:                              ;   in Loop: Header=BB0_3 Depth=1
	s_wait_dscnt 0x0
	v_add_f32_e32 v6, v6, v7
	ds_store_b32 v8, v6
.LBB0_107:                              ;   in Loop: Header=BB0_3 Depth=1
	s_or_b32 exec_lo, exec_lo, s5
	s_delay_alu instid0(SALU_CYCLE_1)
	s_and_not1_b32 vcc_lo, exec_lo, s56
	s_wait_storecnt_dscnt 0x0
	s_barrier_signal -1
	s_barrier_wait -1
	s_cbranch_vccnz .LBB0_114
; %bb.108:                              ;   in Loop: Header=BB0_3 Depth=1
	v_mov_b32_e32 v6, 0
	s_and_saveexec_b32 s5, s4
; %bb.109:                              ;   in Loop: Header=BB0_3 Depth=1
	ds_load_b32 v6, v9
; %bb.110:                              ;   in Loop: Header=BB0_3 Depth=1
	s_or_b32 exec_lo, exec_lo, s5
	s_and_saveexec_b32 s5, s0
	s_cbranch_execz .LBB0_113
; %bb.111:                              ;   in Loop: Header=BB0_3 Depth=1
	s_wait_dscnt 0x0
	ds_bpermute_b32 v7, v10, v6
	s_wait_dscnt 0x0
	v_add_f32_e32 v6, v6, v7
	ds_bpermute_b32 v7, v13, v6
	s_wait_dscnt 0x0
	v_add_f32_e32 v6, v6, v7
	;; [unrolled: 3-line block ×4, first 2 shown]
	ds_bpermute_b32 v7, v16, v6
	s_and_b32 exec_lo, exec_lo, s1
	s_cbranch_execz .LBB0_113
; %bb.112:                              ;   in Loop: Header=BB0_3 Depth=1
	s_wait_dscnt 0x0
	v_add_f32_e32 v6, v6, v7
	ds_store_b32 v19, v6
.LBB0_113:                              ;   in Loop: Header=BB0_3 Depth=1
	s_or_b32 exec_lo, exec_lo, s5
	s_wait_dscnt 0x0
	s_barrier_signal -1
	s_barrier_wait -1
.LBB0_114:                              ;   in Loop: Header=BB0_3 Depth=1
	ds_load_b32 v6, v19
	v_mov_b32_e32 v7, 0
	s_and_saveexec_b32 s5, s2
	s_cbranch_execz .LBB0_118
; %bb.115:                              ;   in Loop: Header=BB0_3 Depth=1
	v_dual_mov_b32 v7, 0 :: v_dual_mov_b32 v20, v11
	v_mov_b32_e32 v21, v0
	s_wait_kmcnt 0x0
	s_mov_b32 s6, 0
.LBB0_116:                              ;   Parent Loop BB0_3 Depth=1
                                        ; =>  This Inner Loop Header: Depth=2
	ds_load_b32 v22, v20
	v_dual_add_nc_u32 v21, s55, v21 :: v_dual_add_nc_u32 v20, s61, v20
	s_delay_alu instid0(VALU_DEP_1)
	v_cmp_le_i32_e32 vcc_lo, s37, v21
	s_or_b32 s6, vcc_lo, s6
	s_wait_dscnt 0x0
	v_add_f32_e32 v7, v7, v22
	s_and_not1_b32 exec_lo, exec_lo, s6
	s_cbranch_execnz .LBB0_116
; %bb.117:                              ;   in Loop: Header=BB0_3 Depth=1
	s_or_b32 exec_lo, exec_lo, s6
.LBB0_118:                              ;   in Loop: Header=BB0_3 Depth=1
	s_delay_alu instid0(SALU_CYCLE_1)
	s_or_b32 exec_lo, exec_lo, s5
	ds_bpermute_b32 v20, v10, v7
	s_wait_dscnt 0x0
	v_add_f32_e32 v7, v7, v20
	ds_bpermute_b32 v20, v13, v7
	s_wait_dscnt 0x0
	v_add_f32_e32 v7, v7, v20
	;; [unrolled: 3-line block ×4, first 2 shown]
	ds_bpermute_b32 v20, v16, v7
	s_and_saveexec_b32 s5, s3
	s_cbranch_execz .LBB0_120
; %bb.119:                              ;   in Loop: Header=BB0_3 Depth=1
	s_wait_dscnt 0x0
	v_add_f32_e32 v7, v7, v20
	ds_store_b32 v8, v7
.LBB0_120:                              ;   in Loop: Header=BB0_3 Depth=1
	s_or_b32 exec_lo, exec_lo, s5
	s_delay_alu instid0(SALU_CYCLE_1)
	s_and_not1_b32 vcc_lo, exec_lo, s56
	s_wait_dscnt 0x0
	s_barrier_signal -1
	s_barrier_wait -1
	s_cbranch_vccnz .LBB0_127
; %bb.121:                              ;   in Loop: Header=BB0_3 Depth=1
	v_mov_b32_e32 v7, 0
	s_and_saveexec_b32 s5, s4
; %bb.122:                              ;   in Loop: Header=BB0_3 Depth=1
	ds_load_b32 v7, v9
; %bb.123:                              ;   in Loop: Header=BB0_3 Depth=1
	s_or_b32 exec_lo, exec_lo, s5
	s_and_saveexec_b32 s5, s0
	s_cbranch_execz .LBB0_126
; %bb.124:                              ;   in Loop: Header=BB0_3 Depth=1
	s_wait_dscnt 0x0
	ds_bpermute_b32 v20, v10, v7
	s_wait_dscnt 0x0
	v_add_f32_e32 v7, v7, v20
	ds_bpermute_b32 v20, v13, v7
	s_wait_dscnt 0x0
	v_add_f32_e32 v7, v7, v20
	;; [unrolled: 3-line block ×4, first 2 shown]
	ds_bpermute_b32 v20, v16, v7
	s_and_b32 exec_lo, exec_lo, s1
	s_cbranch_execz .LBB0_126
; %bb.125:                              ;   in Loop: Header=BB0_3 Depth=1
	s_wait_dscnt 0x0
	v_add_f32_e32 v7, v7, v20
	ds_store_b32 v19, v7
.LBB0_126:                              ;   in Loop: Header=BB0_3 Depth=1
	s_or_b32 exec_lo, exec_lo, s5
	s_wait_dscnt 0x0
	s_barrier_signal -1
	s_barrier_wait -1
.LBB0_127:                              ;   in Loop: Header=BB0_3 Depth=1
	s_and_saveexec_b32 s5, s1
	s_cbranch_execz .LBB0_2
; %bb.128:                              ;   in Loop: Header=BB0_3 Depth=1
	s_clause 0x1
	global_load_b32 v7, v19, s[10:11]
	global_load_b32 v20, v19, s[12:13]
	ds_load_b32 v21, v19
	s_wait_loadcnt_dscnt 0x0
	v_dual_add_f32 v6, v6, v7 :: v_dual_add_f32 v7, v21, v20
	s_clause 0x1
	global_store_b32 v19, v6, s[10:11]
	global_store_b32 v19, v7, s[12:13]
	s_branch .LBB0_2
.LBB0_129:
	s_endpgm
	.section	.rodata,"a",@progbits
	.p2align	6, 0x0
	.amdhsa_kernel _Z11EstepKernelPKiS0_PKbPKfbiiiiS4_S4_PfS5_S5_S5_S5_Pi
		.amdhsa_group_segment_fixed_size 128
		.amdhsa_private_segment_fixed_size 0
		.amdhsa_kernarg_size 376
		.amdhsa_user_sgpr_count 2
		.amdhsa_user_sgpr_dispatch_ptr 0
		.amdhsa_user_sgpr_queue_ptr 0
		.amdhsa_user_sgpr_kernarg_segment_ptr 1
		.amdhsa_user_sgpr_dispatch_id 0
		.amdhsa_user_sgpr_kernarg_preload_length 0
		.amdhsa_user_sgpr_kernarg_preload_offset 0
		.amdhsa_user_sgpr_private_segment_size 0
		.amdhsa_wavefront_size32 1
		.amdhsa_uses_dynamic_stack 0
		.amdhsa_enable_private_segment 0
		.amdhsa_system_sgpr_workgroup_id_x 1
		.amdhsa_system_sgpr_workgroup_id_y 0
		.amdhsa_system_sgpr_workgroup_id_z 0
		.amdhsa_system_sgpr_workgroup_info 0
		.amdhsa_system_vgpr_workitem_id 0
		.amdhsa_next_free_vgpr 37
		.amdhsa_next_free_sgpr 66
		.amdhsa_named_barrier_count 0
		.amdhsa_reserve_vcc 1
		.amdhsa_float_round_mode_32 0
		.amdhsa_float_round_mode_16_64 0
		.amdhsa_float_denorm_mode_32 3
		.amdhsa_float_denorm_mode_16_64 3
		.amdhsa_fp16_overflow 0
		.amdhsa_memory_ordered 1
		.amdhsa_forward_progress 1
		.amdhsa_inst_pref_size 47
		.amdhsa_round_robin_scheduling 0
		.amdhsa_exception_fp_ieee_invalid_op 0
		.amdhsa_exception_fp_denorm_src 0
		.amdhsa_exception_fp_ieee_div_zero 0
		.amdhsa_exception_fp_ieee_overflow 0
		.amdhsa_exception_fp_ieee_underflow 0
		.amdhsa_exception_fp_ieee_inexact 0
		.amdhsa_exception_int_div_zero 0
	.end_amdhsa_kernel
	.text
.Lfunc_end0:
	.size	_Z11EstepKernelPKiS0_PKbPKfbiiiiS4_S4_PfS5_S5_S5_S5_Pi, .Lfunc_end0-_Z11EstepKernelPKiS0_PKbPKfbiiiiS4_S4_PfS5_S5_S5_S5_Pi
                                        ; -- End function
	.set _Z11EstepKernelPKiS0_PKbPKfbiiiiS4_S4_PfS5_S5_S5_S5_Pi.num_vgpr, 37
	.set _Z11EstepKernelPKiS0_PKbPKfbiiiiS4_S4_PfS5_S5_S5_S5_Pi.num_agpr, 0
	.set _Z11EstepKernelPKiS0_PKbPKfbiiiiS4_S4_PfS5_S5_S5_S5_Pi.numbered_sgpr, 66
	.set _Z11EstepKernelPKiS0_PKbPKfbiiiiS4_S4_PfS5_S5_S5_S5_Pi.num_named_barrier, 0
	.set _Z11EstepKernelPKiS0_PKbPKfbiiiiS4_S4_PfS5_S5_S5_S5_Pi.private_seg_size, 0
	.set _Z11EstepKernelPKiS0_PKbPKfbiiiiS4_S4_PfS5_S5_S5_S5_Pi.uses_vcc, 1
	.set _Z11EstepKernelPKiS0_PKbPKfbiiiiS4_S4_PfS5_S5_S5_S5_Pi.uses_flat_scratch, 0
	.set _Z11EstepKernelPKiS0_PKbPKfbiiiiS4_S4_PfS5_S5_S5_S5_Pi.has_dyn_sized_stack, 0
	.set _Z11EstepKernelPKiS0_PKbPKfbiiiiS4_S4_PfS5_S5_S5_S5_Pi.has_recursion, 0
	.set _Z11EstepKernelPKiS0_PKbPKfbiiiiS4_S4_PfS5_S5_S5_S5_Pi.has_indirect_call, 0
	.section	.AMDGPU.csdata,"",@progbits
; Kernel info:
; codeLenInByte = 5996
; TotalNumSgprs: 68
; NumVgprs: 37
; ScratchSize: 0
; MemoryBound: 0
; FloatMode: 240
; IeeeMode: 1
; LDSByteSize: 128 bytes/workgroup (compile time only)
; SGPRBlocks: 0
; VGPRBlocks: 2
; NumSGPRsForWavesPerEU: 68
; NumVGPRsForWavesPerEU: 37
; NamedBarCnt: 0
; Occupancy: 16
; WaveLimiterHint : 1
; COMPUTE_PGM_RSRC2:SCRATCH_EN: 0
; COMPUTE_PGM_RSRC2:USER_SGPR: 2
; COMPUTE_PGM_RSRC2:TRAP_HANDLER: 0
; COMPUTE_PGM_RSRC2:TGID_X_EN: 1
; COMPUTE_PGM_RSRC2:TGID_Y_EN: 0
; COMPUTE_PGM_RSRC2:TGID_Z_EN: 0
; COMPUTE_PGM_RSRC2:TIDIG_COMP_CNT: 0
	.text
	.p2alignl 7, 3214868480
	.fill 96, 4, 3214868480
	.section	.AMDGPU.gpr_maximums,"",@progbits
	.set amdgpu.max_num_vgpr, 0
	.set amdgpu.max_num_agpr, 0
	.set amdgpu.max_num_sgpr, 0
	.text
	.type	__hip_cuid_f93ddfa88a1e6e0d,@object ; @__hip_cuid_f93ddfa88a1e6e0d
	.section	.bss,"aw",@nobits
	.globl	__hip_cuid_f93ddfa88a1e6e0d
__hip_cuid_f93ddfa88a1e6e0d:
	.byte	0                               ; 0x0
	.size	__hip_cuid_f93ddfa88a1e6e0d, 1

	.ident	"AMD clang version 22.0.0git (https://github.com/RadeonOpenCompute/llvm-project roc-7.2.4 26084 f58b06dce1f9c15707c5f808fd002e18c2accf7e)"
	.section	".note.GNU-stack","",@progbits
	.addrsig
	.addrsig_sym __hip_cuid_f93ddfa88a1e6e0d
	.amdgpu_metadata
---
amdhsa.kernels:
  - .args:
      - .actual_access:  read_only
        .address_space:  global
        .offset:         0
        .size:           8
        .value_kind:     global_buffer
      - .actual_access:  read_only
        .address_space:  global
        .offset:         8
        .size:           8
        .value_kind:     global_buffer
      - .actual_access:  read_only
        .address_space:  global
        .offset:         16
        .size:           8
        .value_kind:     global_buffer
      - .actual_access:  read_only
        .address_space:  global
        .offset:         24
        .size:           8
        .value_kind:     global_buffer
      - .offset:         32
        .size:           1
        .value_kind:     by_value
      - .offset:         36
        .size:           4
        .value_kind:     by_value
      - .offset:         40
        .size:           4
        .value_kind:     by_value
      - .offset:         44
        .size:           4
        .value_kind:     by_value
      - .offset:         48
        .size:           4
        .value_kind:     by_value
      - .actual_access:  read_only
        .address_space:  global
        .offset:         56
        .size:           8
        .value_kind:     global_buffer
      - .actual_access:  read_only
        .address_space:  global
        .offset:         64
        .size:           8
        .value_kind:     global_buffer
      - .address_space:  global
        .offset:         72
        .size:           8
        .value_kind:     global_buffer
      - .address_space:  global
        .offset:         80
        .size:           8
        .value_kind:     global_buffer
      - .address_space:  global
        .offset:         88
        .size:           8
        .value_kind:     global_buffer
      - .address_space:  global
        .offset:         96
        .size:           8
        .value_kind:     global_buffer
      - .address_space:  global
        .offset:         104
        .size:           8
        .value_kind:     global_buffer
      - .address_space:  global
        .offset:         112
        .size:           8
        .value_kind:     global_buffer
      - .offset:         120
        .size:           4
        .value_kind:     hidden_block_count_x
      - .offset:         124
        .size:           4
        .value_kind:     hidden_block_count_y
      - .offset:         128
        .size:           4
        .value_kind:     hidden_block_count_z
      - .offset:         132
        .size:           2
        .value_kind:     hidden_group_size_x
      - .offset:         134
        .size:           2
        .value_kind:     hidden_group_size_y
      - .offset:         136
        .size:           2
        .value_kind:     hidden_group_size_z
      - .offset:         138
        .size:           2
        .value_kind:     hidden_remainder_x
      - .offset:         140
        .size:           2
        .value_kind:     hidden_remainder_y
      - .offset:         142
        .size:           2
        .value_kind:     hidden_remainder_z
      - .offset:         160
        .size:           8
        .value_kind:     hidden_global_offset_x
      - .offset:         168
        .size:           8
        .value_kind:     hidden_global_offset_y
      - .offset:         176
        .size:           8
        .value_kind:     hidden_global_offset_z
      - .offset:         184
        .size:           2
        .value_kind:     hidden_grid_dims
      - .offset:         240
        .size:           4
        .value_kind:     hidden_dynamic_lds_size
    .group_segment_fixed_size: 128
    .kernarg_segment_align: 8
    .kernarg_segment_size: 376
    .language:       OpenCL C
    .language_version:
      - 2
      - 0
    .max_flat_workgroup_size: 1024
    .name:           _Z11EstepKernelPKiS0_PKbPKfbiiiiS4_S4_PfS5_S5_S5_S5_Pi
    .private_segment_fixed_size: 0
    .sgpr_count:     68
    .sgpr_spill_count: 0
    .symbol:         _Z11EstepKernelPKiS0_PKbPKfbiiiiS4_S4_PfS5_S5_S5_S5_Pi.kd
    .uniform_work_group_size: 1
    .uses_dynamic_stack: false
    .vgpr_count:     37
    .vgpr_spill_count: 0
    .wavefront_size: 32
amdhsa.target:   amdgcn-amd-amdhsa--gfx1250
amdhsa.version:
  - 1
  - 2
...

	.end_amdgpu_metadata
